;; amdgpu-corpus repo=ROCm/rocFFT kind=compiled arch=gfx1030 opt=O3
	.text
	.amdgcn_target "amdgcn-amd-amdhsa--gfx1030"
	.amdhsa_code_object_version 6
	.protected	fft_rtc_back_len1750_factors_2_5_5_7_5_wgs_175_tpt_175_halfLds_sp_op_CI_CI_sbrr_dirReg ; -- Begin function fft_rtc_back_len1750_factors_2_5_5_7_5_wgs_175_tpt_175_halfLds_sp_op_CI_CI_sbrr_dirReg
	.globl	fft_rtc_back_len1750_factors_2_5_5_7_5_wgs_175_tpt_175_halfLds_sp_op_CI_CI_sbrr_dirReg
	.p2align	8
	.type	fft_rtc_back_len1750_factors_2_5_5_7_5_wgs_175_tpt_175_halfLds_sp_op_CI_CI_sbrr_dirReg,@function
fft_rtc_back_len1750_factors_2_5_5_7_5_wgs_175_tpt_175_halfLds_sp_op_CI_CI_sbrr_dirReg: ; @fft_rtc_back_len1750_factors_2_5_5_7_5_wgs_175_tpt_175_halfLds_sp_op_CI_CI_sbrr_dirReg
; %bb.0:
	s_clause 0x2
	s_load_dwordx4 s[16:19], s[4:5], 0x18
	s_load_dwordx4 s[12:15], s[4:5], 0x0
	;; [unrolled: 1-line block ×3, first 2 shown]
	v_mul_u32_u24_e32 v1, 0x177, v0
	v_mov_b32_e32 v3, 0
	s_waitcnt lgkmcnt(0)
	s_load_dwordx2 s[20:21], s[16:17], 0x0
	s_load_dwordx2 s[2:3], s[18:19], 0x0
	v_cmp_lt_u64_e64 s0, s[14:15], 2
	v_add_nc_u32_sdwa v5, s6, v1 dst_sel:DWORD dst_unused:UNUSED_PAD src0_sel:DWORD src1_sel:WORD_1
	v_mov_b32_e32 v1, 0
	v_mov_b32_e32 v6, v3
	;; [unrolled: 1-line block ×3, first 2 shown]
	s_and_b32 vcc_lo, exec_lo, s0
	s_cbranch_vccnz .LBB0_8
; %bb.1:
	s_load_dwordx2 s[0:1], s[4:5], 0x10
	v_mov_b32_e32 v1, 0
	v_mov_b32_e32 v2, 0
	s_add_u32 s6, s18, 8
	s_addc_u32 s7, s19, 0
	s_add_u32 s22, s16, 8
	s_addc_u32 s23, s17, 0
	v_mov_b32_e32 v9, v2
	v_mov_b32_e32 v8, v1
	s_mov_b64 s[26:27], 1
	s_waitcnt lgkmcnt(0)
	s_add_u32 s24, s0, 8
	s_addc_u32 s25, s1, 0
.LBB0_2:                                ; =>This Inner Loop Header: Depth=1
	s_load_dwordx2 s[28:29], s[24:25], 0x0
                                        ; implicit-def: $vgpr10_vgpr11
	s_mov_b32 s0, exec_lo
	s_waitcnt lgkmcnt(0)
	v_or_b32_e32 v4, s29, v6
	v_cmpx_ne_u64_e32 0, v[3:4]
	s_xor_b32 s1, exec_lo, s0
	s_cbranch_execz .LBB0_4
; %bb.3:                                ;   in Loop: Header=BB0_2 Depth=1
	v_cvt_f32_u32_e32 v4, s28
	v_cvt_f32_u32_e32 v7, s29
	s_sub_u32 s0, 0, s28
	s_subb_u32 s30, 0, s29
	v_fmac_f32_e32 v4, 0x4f800000, v7
	v_rcp_f32_e32 v4, v4
	v_mul_f32_e32 v4, 0x5f7ffffc, v4
	v_mul_f32_e32 v7, 0x2f800000, v4
	v_trunc_f32_e32 v7, v7
	v_fmac_f32_e32 v4, 0xcf800000, v7
	v_cvt_u32_f32_e32 v7, v7
	v_cvt_u32_f32_e32 v4, v4
	v_mul_lo_u32 v10, s0, v7
	v_mul_hi_u32 v11, s0, v4
	v_mul_lo_u32 v12, s30, v4
	v_add_nc_u32_e32 v10, v11, v10
	v_mul_lo_u32 v11, s0, v4
	v_add_nc_u32_e32 v10, v10, v12
	v_mul_hi_u32 v12, v4, v11
	v_mul_lo_u32 v13, v4, v10
	v_mul_hi_u32 v14, v4, v10
	v_mul_hi_u32 v15, v7, v11
	v_mul_lo_u32 v11, v7, v11
	v_mul_hi_u32 v16, v7, v10
	v_mul_lo_u32 v10, v7, v10
	v_add_co_u32 v12, vcc_lo, v12, v13
	v_add_co_ci_u32_e32 v13, vcc_lo, 0, v14, vcc_lo
	v_add_co_u32 v11, vcc_lo, v12, v11
	v_add_co_ci_u32_e32 v11, vcc_lo, v13, v15, vcc_lo
	v_add_co_ci_u32_e32 v12, vcc_lo, 0, v16, vcc_lo
	v_add_co_u32 v10, vcc_lo, v11, v10
	v_add_co_ci_u32_e32 v11, vcc_lo, 0, v12, vcc_lo
	v_add_co_u32 v4, vcc_lo, v4, v10
	v_add_co_ci_u32_e32 v7, vcc_lo, v7, v11, vcc_lo
	v_mul_hi_u32 v10, s0, v4
	v_mul_lo_u32 v12, s30, v4
	v_mul_lo_u32 v11, s0, v7
	v_add_nc_u32_e32 v10, v10, v11
	v_mul_lo_u32 v11, s0, v4
	v_add_nc_u32_e32 v10, v10, v12
	v_mul_hi_u32 v12, v4, v11
	v_mul_lo_u32 v13, v4, v10
	v_mul_hi_u32 v14, v4, v10
	v_mul_hi_u32 v15, v7, v11
	v_mul_lo_u32 v11, v7, v11
	v_mul_hi_u32 v16, v7, v10
	v_mul_lo_u32 v10, v7, v10
	v_add_co_u32 v12, vcc_lo, v12, v13
	v_add_co_ci_u32_e32 v13, vcc_lo, 0, v14, vcc_lo
	v_add_co_u32 v11, vcc_lo, v12, v11
	v_add_co_ci_u32_e32 v11, vcc_lo, v13, v15, vcc_lo
	v_add_co_ci_u32_e32 v12, vcc_lo, 0, v16, vcc_lo
	v_add_co_u32 v10, vcc_lo, v11, v10
	v_add_co_ci_u32_e32 v11, vcc_lo, 0, v12, vcc_lo
	v_add_co_u32 v4, vcc_lo, v4, v10
	v_add_co_ci_u32_e32 v7, vcc_lo, v7, v11, vcc_lo
	v_mul_hi_u32 v16, v5, v4
	v_mad_u64_u32 v[12:13], null, v6, v4, 0
	v_mad_u64_u32 v[10:11], null, v5, v7, 0
	v_mad_u64_u32 v[14:15], null, v6, v7, 0
	v_add_co_u32 v4, vcc_lo, v16, v10
	v_add_co_ci_u32_e32 v7, vcc_lo, 0, v11, vcc_lo
	v_add_co_u32 v4, vcc_lo, v4, v12
	v_add_co_ci_u32_e32 v4, vcc_lo, v7, v13, vcc_lo
	v_add_co_ci_u32_e32 v7, vcc_lo, 0, v15, vcc_lo
	v_add_co_u32 v4, vcc_lo, v4, v14
	v_add_co_ci_u32_e32 v7, vcc_lo, 0, v7, vcc_lo
	v_mul_lo_u32 v12, s29, v4
	v_mad_u64_u32 v[10:11], null, s28, v4, 0
	v_mul_lo_u32 v13, s28, v7
	v_sub_co_u32 v10, vcc_lo, v5, v10
	v_add3_u32 v11, v11, v13, v12
	v_sub_nc_u32_e32 v12, v6, v11
	v_subrev_co_ci_u32_e64 v12, s0, s29, v12, vcc_lo
	v_add_co_u32 v13, s0, v4, 2
	v_add_co_ci_u32_e64 v14, s0, 0, v7, s0
	v_sub_co_u32 v15, s0, v10, s28
	v_sub_co_ci_u32_e32 v11, vcc_lo, v6, v11, vcc_lo
	v_subrev_co_ci_u32_e64 v12, s0, 0, v12, s0
	v_cmp_le_u32_e32 vcc_lo, s28, v15
	v_cmp_eq_u32_e64 s0, s29, v11
	v_cndmask_b32_e64 v15, 0, -1, vcc_lo
	v_cmp_le_u32_e32 vcc_lo, s29, v12
	v_cndmask_b32_e64 v16, 0, -1, vcc_lo
	v_cmp_le_u32_e32 vcc_lo, s28, v10
	;; [unrolled: 2-line block ×3, first 2 shown]
	v_cndmask_b32_e64 v17, 0, -1, vcc_lo
	v_cmp_eq_u32_e32 vcc_lo, s29, v12
	v_cndmask_b32_e64 v10, v17, v10, s0
	v_cndmask_b32_e32 v12, v16, v15, vcc_lo
	v_add_co_u32 v15, vcc_lo, v4, 1
	v_add_co_ci_u32_e32 v16, vcc_lo, 0, v7, vcc_lo
	v_cmp_ne_u32_e32 vcc_lo, 0, v12
	v_cndmask_b32_e32 v11, v16, v14, vcc_lo
	v_cndmask_b32_e32 v12, v15, v13, vcc_lo
	v_cmp_ne_u32_e32 vcc_lo, 0, v10
	v_cndmask_b32_e32 v11, v7, v11, vcc_lo
	v_cndmask_b32_e32 v10, v4, v12, vcc_lo
.LBB0_4:                                ;   in Loop: Header=BB0_2 Depth=1
	s_andn2_saveexec_b32 s0, s1
	s_cbranch_execz .LBB0_6
; %bb.5:                                ;   in Loop: Header=BB0_2 Depth=1
	v_cvt_f32_u32_e32 v4, s28
	s_sub_i32 s1, 0, s28
	v_rcp_iflag_f32_e32 v4, v4
	v_mul_f32_e32 v4, 0x4f7ffffe, v4
	v_cvt_u32_f32_e32 v4, v4
	v_mul_lo_u32 v7, s1, v4
	v_mul_hi_u32 v7, v4, v7
	v_add_nc_u32_e32 v4, v4, v7
	v_mul_hi_u32 v4, v5, v4
	v_mul_lo_u32 v7, v4, s28
	v_add_nc_u32_e32 v10, 1, v4
	v_sub_nc_u32_e32 v7, v5, v7
	v_subrev_nc_u32_e32 v11, s28, v7
	v_cmp_le_u32_e32 vcc_lo, s28, v7
	v_cndmask_b32_e32 v7, v7, v11, vcc_lo
	v_cndmask_b32_e32 v4, v4, v10, vcc_lo
	v_mov_b32_e32 v11, v3
	v_cmp_le_u32_e32 vcc_lo, s28, v7
	v_add_nc_u32_e32 v10, 1, v4
	v_cndmask_b32_e32 v10, v4, v10, vcc_lo
.LBB0_6:                                ;   in Loop: Header=BB0_2 Depth=1
	s_or_b32 exec_lo, exec_lo, s0
	v_mul_lo_u32 v4, v11, s28
	v_mul_lo_u32 v7, v10, s29
	s_load_dwordx2 s[0:1], s[22:23], 0x0
	v_mad_u64_u32 v[12:13], null, v10, s28, 0
	s_load_dwordx2 s[28:29], s[6:7], 0x0
	s_add_u32 s26, s26, 1
	s_addc_u32 s27, s27, 0
	s_add_u32 s6, s6, 8
	s_addc_u32 s7, s7, 0
	s_add_u32 s22, s22, 8
	v_add3_u32 v4, v13, v7, v4
	v_sub_co_u32 v5, vcc_lo, v5, v12
	s_addc_u32 s23, s23, 0
	s_add_u32 s24, s24, 8
	v_sub_co_ci_u32_e32 v4, vcc_lo, v6, v4, vcc_lo
	s_addc_u32 s25, s25, 0
	s_waitcnt lgkmcnt(0)
	v_mul_lo_u32 v6, s0, v4
	v_mul_lo_u32 v7, s1, v5
	v_mad_u64_u32 v[1:2], null, s0, v5, v[1:2]
	v_mul_lo_u32 v4, s28, v4
	v_mul_lo_u32 v12, s29, v5
	v_mad_u64_u32 v[8:9], null, s28, v5, v[8:9]
	v_cmp_ge_u64_e64 s0, s[26:27], s[14:15]
	v_add3_u32 v2, v7, v2, v6
	v_add3_u32 v9, v12, v9, v4
	s_and_b32 vcc_lo, exec_lo, s0
	s_cbranch_vccnz .LBB0_9
; %bb.7:                                ;   in Loop: Header=BB0_2 Depth=1
	v_mov_b32_e32 v5, v10
	v_mov_b32_e32 v6, v11
	s_branch .LBB0_2
.LBB0_8:
	v_mov_b32_e32 v9, v2
	v_mov_b32_e32 v11, v6
	;; [unrolled: 1-line block ×4, first 2 shown]
.LBB0_9:
	s_load_dwordx2 s[0:1], s[4:5], 0x28
	v_mul_hi_u32 v12, 0x1767dcf, v0
	s_lshl_b64 s[6:7], s[14:15], 3
                                        ; implicit-def: $sgpr14_sgpr15
                                        ; implicit-def: $vgpr30
                                        ; implicit-def: $vgpr31
                                        ; implicit-def: $vgpr7
                                        ; implicit-def: $vgpr28
	s_add_u32 s4, s18, s6
	s_addc_u32 s5, s19, s7
	s_waitcnt lgkmcnt(0)
	v_cmp_gt_u64_e32 vcc_lo, s[0:1], v[10:11]
	v_cmp_le_u64_e64 s0, s[0:1], v[10:11]
	s_and_saveexec_b32 s1, s0
	s_xor_b32 s0, exec_lo, s1
; %bb.10:
	v_mul_u32_u24_e32 v1, 0xaf, v12
	s_mov_b64 s[14:15], 0
                                        ; implicit-def: $vgpr12
	v_sub_nc_u32_e32 v30, v0, v1
                                        ; implicit-def: $vgpr0
                                        ; implicit-def: $vgpr1_vgpr2
	v_add_nc_u32_e32 v31, 0xaf, v30
	v_add_nc_u32_e32 v7, 0x15e, v30
	;; [unrolled: 1-line block ×3, first 2 shown]
; %bb.11:
	s_or_saveexec_b32 s1, s0
	v_mov_b32_e32 v3, s14
	v_mov_b32_e32 v5, s14
	;; [unrolled: 1-line block ×10, first 2 shown]
                                        ; implicit-def: $vgpr13
                                        ; implicit-def: $vgpr25
                                        ; implicit-def: $vgpr23
                                        ; implicit-def: $vgpr27
                                        ; implicit-def: $vgpr15
	s_xor_b32 exec_lo, exec_lo, s1
	s_cbranch_execz .LBB0_13
; %bb.12:
	s_add_u32 s6, s16, s6
	s_addc_u32 s7, s17, s7
	v_mul_u32_u24_e32 v3, 0xaf, v12
	s_load_dwordx2 s[6:7], s[6:7], 0x0
	v_sub_nc_u32_e32 v30, v0, v3
	v_lshlrev_b64 v[0:1], 3, v[1:2]
	v_add_nc_u32_e32 v21, 0x36b, v30
	v_add_nc_u32_e32 v31, 0xaf, v30
	;; [unrolled: 1-line block ×3, first 2 shown]
	v_mad_u64_u32 v[2:3], null, s20, v30, 0
	v_mad_u64_u32 v[4:5], null, s20, v21, 0
	;; [unrolled: 1-line block ×4, first 2 shown]
	s_waitcnt lgkmcnt(0)
	v_mul_lo_u32 v6, s7, v10
	v_mul_lo_u32 v22, s6, v11
	v_mad_u64_u32 v[14:15], null, s6, v10, 0
	v_mad_u64_u32 v[18:19], null, s21, v30, v[3:4]
	v_mov_b32_e32 v3, v5
	v_mov_b32_e32 v5, v13
	v_add_nc_u32_e32 v7, 0x15e, v30
	v_add_nc_u32_e32 v32, 0x20d, v30
	v_add3_u32 v15, v15, v22, v6
	v_mov_b32_e32 v6, v17
	v_mad_u64_u32 v[21:22], null, s21, v21, v[3:4]
	v_mov_b32_e32 v3, v18
	v_lshlrev_b64 v[13:14], 3, v[14:15]
	v_mad_u64_u32 v[17:18], null, s21, v31, v[5:6]
	v_mad_u64_u32 v[22:23], null, s21, v23, v[6:7]
	;; [unrolled: 1-line block ×3, first 2 shown]
	v_add_co_u32 v6, s0, s8, v13
	v_add_co_ci_u32_e64 v13, s0, s9, v14, s0
	v_mov_b32_e32 v5, v21
	v_add_co_u32 v27, s0, v6, v0
	v_lshlrev_b64 v[2:3], 3, v[2:3]
	v_add_co_ci_u32_e64 v29, s0, v13, v1, s0
	v_mov_b32_e32 v13, v17
	v_mov_b32_e32 v17, v22
	v_add_nc_u32_e32 v18, 0x4c9, v30
	v_lshlrev_b64 v[0:1], 3, v[4:5]
	v_add_co_u32 v2, s0, v27, v2
	v_lshlrev_b64 v[5:6], 3, v[12:13]
	v_mov_b32_e32 v4, v20
	v_lshlrev_b64 v[12:13], 3, v[16:17]
	v_mad_u64_u32 v[16:17], null, s20, v18, 0
	v_add_co_ci_u32_e64 v3, s0, v29, v3, s0
	v_add_co_u32 v0, s0, v27, v0
	v_add_co_ci_u32_e64 v1, s0, v29, v1, s0
	v_mad_u64_u32 v[14:15], null, s21, v7, v[4:5]
	v_add_co_u32 v5, s0, v27, v5
	v_add_co_ci_u32_e64 v6, s0, v29, v6, s0
	v_mov_b32_e32 v4, v17
	v_add_co_u32 v21, s0, v27, v12
	v_add_co_ci_u32_e64 v22, s0, v29, v13, s0
	v_mov_b32_e32 v20, v14
	v_mad_u64_u32 v[17:18], null, s21, v18, v[4:5]
	s_clause 0x3
	global_load_dwordx2 v[3:4], v[2:3], off
	global_load_dwordx2 v[12:13], v[0:1], off
	;; [unrolled: 1-line block ×4, first 2 shown]
	v_mad_u64_u32 v[23:24], null, s20, v32, 0
	v_add_nc_u32_e32 v33, 0x578, v30
	v_lshlrev_b64 v[1:2], 3, v[19:20]
	v_add_nc_u32_e32 v28, 0x2bc, v30
	v_add_nc_u32_e32 v34, 0x627, v30
	v_lshlrev_b64 v[16:17], 3, v[16:17]
	v_mad_u64_u32 v[25:26], null, s20, v33, 0
	v_mov_b32_e32 v0, v24
	v_mad_u64_u32 v[18:19], null, s21, v32, v[0:1]
	v_mov_b32_e32 v0, v26
	v_mad_u64_u32 v[19:20], null, s20, v28, 0
	v_mad_u64_u32 v[21:22], null, s21, v33, v[0:1]
	;; [unrolled: 1-line block ×3, first 2 shown]
	v_add_co_u32 v0, s0, v27, v1
	v_add_co_ci_u32_e64 v1, s0, v29, v2, s0
	v_mov_b32_e32 v2, v20
	v_mov_b32_e32 v24, v18
	;; [unrolled: 1-line block ×3, first 2 shown]
	v_add_co_u32 v16, s0, v27, v16
	v_add_co_ci_u32_e64 v17, s0, v29, v17, s0
	s_waitcnt vmcnt(3)
	v_mad_u64_u32 v[20:21], null, s21, v28, v[2:3]
	v_mov_b32_e32 v2, v33
	v_lshlrev_b64 v[21:22], 3, v[23:24]
	v_mad_u64_u32 v[23:24], null, s21, v34, v[2:3]
	v_lshlrev_b64 v[24:25], 3, v[25:26]
	v_add_co_u32 v34, s0, v27, v21
	v_lshlrev_b64 v[18:19], 3, v[19:20]
	v_add_co_ci_u32_e64 v35, s0, v29, v22, s0
	v_mov_b32_e32 v33, v23
	v_add_co_u32 v22, s0, v27, v24
	v_add_co_ci_u32_e64 v23, s0, v29, v25, s0
	v_lshlrev_b64 v[20:21], 3, v[32:33]
	v_add_co_u32 v32, s0, v27, v18
	v_add_co_ci_u32_e64 v33, s0, v29, v19, s0
	v_add_co_u32 v36, s0, v27, v20
	v_add_co_ci_u32_e64 v37, s0, v29, v21, s0
	s_clause 0x5
	global_load_dwordx2 v[20:21], v[0:1], off
	global_load_dwordx2 v[26:27], v[16:17], off
	;; [unrolled: 1-line block ×6, first 2 shown]
.LBB0_13:
	s_or_b32 exec_lo, exec_lo, s1
	s_waitcnt vmcnt(8)
	v_sub_f32_e32 v1, v3, v12
	s_waitcnt vmcnt(6)
	v_sub_f32_e32 v14, v5, v14
	v_sub_f32_e32 v37, v4, v13
	s_waitcnt vmcnt(2)
	v_sub_f32_e32 v35, v18, v24
	v_lshl_add_u32 v12, v31, 3, 0
	v_fma_f32 v0, v3, 2.0, -v1
	v_fma_f32 v13, v5, 2.0, -v14
	v_lshl_add_u32 v5, v30, 3, 0
	v_sub_f32_e32 v3, v20, v26
	v_sub_f32_e32 v41, v19, v25
	v_lshl_add_u32 v32, v7, 3, 0
	s_load_dwordx2 s[4:5], s[4:5], 0x0
	ds_write_b64 v5, v[0:1]
	v_lshlrev_b32_e32 v0, 2, v30
	v_fma_f32 v2, v20, 2.0, -v3
	s_waitcnt vmcnt(0)
	v_sub_f32_e32 v20, v16, v22
	v_sub_f32_e32 v39, v6, v15
	v_fma_f32 v34, v18, 2.0, -v35
	v_sub_f32_e32 v18, v17, v23
	ds_write_b64 v12, v[13:14]
	ds_write_b64 v32, v[2:3]
	v_sub_nc_u32_e32 v13, v5, v0
	v_and_b32_e32 v51, 1, v30
	v_fma_f32 v40, v19, 2.0, -v41
	v_fma_f32 v19, v16, 2.0, -v20
	v_lshl_add_u32 v33, v28, 3, 0
	v_sub_f32_e32 v26, v21, v27
	v_lshlrev_b32_e32 v1, 2, v31
	v_fma_f32 v36, v4, 2.0, -v37
	v_fma_f32 v38, v6, 2.0, -v39
	;; [unrolled: 1-line block ×3, first 2 shown]
	ds_write_b64 v5, v[34:35] offset:4200
	ds_write_b64 v33, v[19:20]
	v_lshlrev_b32_e32 v34, 2, v28
	v_lshlrev_b32_e32 v35, 2, v7
	v_add_nc_u32_e32 v6, 0xd00, v13
	v_lshlrev_b32_e32 v19, 5, v51
	v_add_nc_u32_e32 v4, 0x1200, v13
	v_fma_f32 v25, v21, 2.0, -v26
	v_sub_nc_u32_e32 v3, v12, v1
	s_waitcnt lgkmcnt(0)
	s_barrier
	buffer_gl0_inv
	v_sub_nc_u32_e32 v7, v33, v34
	v_sub_nc_u32_e32 v14, v32, v35
	ds_read2_b32 v[27:28], v6 offset0:43 offset1:218
	ds_read2_b32 v[43:44], v4 offset0:73 offset1:248
	ds_read_b32 v2, v3
	ds_read_b32 v29, v13
	ds_read_b32 v47, v13 offset:2100
	ds_read_b32 v48, v7
	ds_read_b32 v49, v14
	ds_read_b32 v50, v13 offset:6300
	s_waitcnt lgkmcnt(0)
	s_barrier
	buffer_gl0_inv
	ds_write_b64 v5, v[36:37]
	ds_write_b64 v12, v[38:39]
	;; [unrolled: 1-line block ×3, first 2 shown]
	ds_write_b64 v5, v[40:41] offset:4200
	ds_write_b64 v33, v[17:18]
	s_waitcnt lgkmcnt(0)
	s_barrier
	buffer_gl0_inv
	global_load_dwordx4 v[15:18], v19, s[12:13]
	v_and_b32_e32 v52, 1, v31
	global_load_dwordx4 v[19:22], v19, s[12:13] offset:16
	v_lshrrev_b32_e32 v55, 1, v30
	v_lshrrev_b32_e32 v38, 1, v31
	v_cmp_gt_u32_e64 s0, 0x4b, v30
	v_lshlrev_b32_e32 v36, 5, v52
	s_clause 0x1
	global_load_dwordx4 v[23:26], v36, s[12:13]
	global_load_dwordx4 v[39:42], v36, s[12:13] offset:16
	ds_read_b32 v53, v14
	ds_read_b32 v54, v7
	ds_read2_b32 v[36:37], v6 offset0:43 offset1:218
	ds_read2_b32 v[45:46], v4 offset0:73 offset1:248
	ds_read_b32 v57, v13
	ds_read_b32 v58, v13 offset:2100
	ds_read_b32 v59, v3
	ds_read_b32 v60, v13 offset:6300
	v_mul_u32_u24_e32 v55, 10, v55
	v_mul_lo_u32 v56, v38, 10
	v_and_b32_e32 v38, 0xff, v30
	s_waitcnt vmcnt(0) lgkmcnt(0)
	s_barrier
	v_or_b32_e32 v51, v55, v51
	buffer_gl0_inv
	v_or_b32_e32 v52, v56, v52
	v_lshl_add_u32 v51, v51, 2, 0
	v_lshl_add_u32 v52, v52, 2, 0
	v_mul_f32_e32 v55, v54, v18
	v_mul_f32_e32 v18, v48, v18
	;; [unrolled: 1-line block ×4, first 2 shown]
	v_fmac_f32_e32 v55, v48, v17
	v_mul_f32_e32 v48, v37, v20
	v_fma_f32 v17, v54, v17, -v18
	v_mul_f32_e32 v18, v28, v20
	v_mul_f32_e32 v20, v46, v22
	;; [unrolled: 1-line block ×3, first 2 shown]
	v_fmac_f32_e32 v61, v49, v15
	v_fmac_f32_e32 v48, v28, v19
	v_fma_f32 v18, v37, v19, -v18
	v_fmac_f32_e32 v20, v44, v21
	v_fma_f32 v19, v46, v21, -v22
	v_mul_f32_e32 v21, v36, v26
	v_fma_f32 v15, v53, v15, -v16
	v_mul_f32_e32 v49, v58, v24
	v_mul_f32_e32 v24, v47, v24
	;; [unrolled: 1-line block ×6, first 2 shown]
	v_fmac_f32_e32 v21, v27, v25
	v_add_f32_e32 v27, v29, v61
	v_fmac_f32_e32 v49, v47, v23
	v_fma_f32 v23, v58, v23, -v24
	v_mul_f32_e32 v24, v50, v42
	v_fma_f32 v22, v36, v25, -v22
	v_fmac_f32_e32 v26, v43, v39
	v_fma_f32 v25, v45, v39, -v28
	v_fmac_f32_e32 v37, v50, v41
	v_sub_f32_e32 v45, v15, v17
	v_sub_f32_e32 v46, v19, v18
	;; [unrolled: 1-line block ×4, first 2 shown]
	v_mov_b32_e32 v16, 0xcccd
	v_add_f32_e32 v28, v55, v48
	v_add_f32_e32 v40, v61, v20
	;; [unrolled: 1-line block ×4, first 2 shown]
	v_fma_f32 v24, v60, v41, -v24
	v_sub_f32_e32 v41, v55, v61
	v_sub_f32_e32 v42, v48, v20
	;; [unrolled: 1-line block ×6, first 2 shown]
	v_add_f32_e32 v45, v45, v46
	v_add_f32_e32 v46, v59, v23
	;; [unrolled: 1-line block ×7, first 2 shown]
	v_fma_f32 v28, -0.5, v28, v29
	v_fmac_f32_e32 v29, -0.5, v40
	v_mul_u32_u24_sdwa v16, v31, v16 dst_sel:DWORD dst_unused:UNUSED_PAD src0_sel:WORD_0 src1_sel:DWORD
	v_add_f32_e32 v27, v27, v48
	v_add_f32_e32 v43, v43, v17
	v_sub_f32_e32 v17, v17, v18
	v_sub_f32_e32 v40, v21, v49
	v_add_f32_e32 v41, v41, v42
	v_sub_f32_e32 v42, v26, v37
	v_add_f32_e32 v50, v50, v53
	;; [unrolled: 2-line block ×3, first 2 shown]
	v_sub_f32_e32 v60, v24, v25
	v_sub_f32_e32 v15, v15, v19
	v_add_f32_e32 v46, v46, v22
	v_add_f32_e32 v54, v2, v49
	v_fma_f32 v44, -0.5, v44, v57
	v_fmac_f32_e32 v57, -0.5, v47
	v_add_f32_e32 v47, v22, v25
	v_fma_f32 v56, -0.5, v56, v2
	v_fmac_f32_e32 v2, -0.5, v39
	v_add_f32_e32 v39, v23, v24
	v_lshrrev_b32_e32 v62, 19, v16
	v_sub_f32_e32 v16, v55, v48
	v_sub_f32_e32 v55, v61, v20
	v_add_f32_e32 v20, v27, v20
	v_fmamk_f32 v27, v17, 0x3f737871, v29
	v_fmac_f32_e32 v29, 0xbf737871, v17
	v_add_f32_e32 v40, v40, v42
	v_sub_f32_e32 v42, v22, v23
	v_add_f32_e32 v53, v53, v60
	v_sub_f32_e32 v60, v25, v24
	v_sub_f32_e32 v22, v22, v25
	v_add_f32_e32 v25, v46, v25
	v_fmamk_f32 v46, v15, 0xbf737871, v28
	v_fmac_f32_e32 v28, 0x3f737871, v15
	v_fma_f32 v47, -0.5, v47, v59
	v_fmac_f32_e32 v59, -0.5, v39
	v_mul_lo_u16 v39, 0xcd, v38
	v_add_f32_e32 v18, v43, v18
	v_sub_f32_e32 v23, v23, v24
	v_sub_f32_e32 v49, v49, v37
	v_fmac_f32_e32 v27, 0xbf167918, v15
	v_fmac_f32_e32 v29, 0x3f167918, v15
	v_fmamk_f32 v15, v16, 0xbf737871, v57
	v_fmac_f32_e32 v57, 0x3f737871, v16
	v_add_f32_e32 v54, v54, v21
	v_sub_f32_e32 v21, v21, v26
	v_fmac_f32_e32 v46, 0xbf167918, v17
	v_fmac_f32_e32 v28, 0x3f167918, v17
	v_fmamk_f32 v17, v55, 0x3f737871, v44
	v_fmac_f32_e32 v44, 0xbf737871, v55
	v_lshrrev_b16 v39, 11, v39
	v_add_f32_e32 v18, v18, v19
	v_fmamk_f32 v19, v23, 0xbf737871, v56
	v_fmac_f32_e32 v15, 0x3f167918, v55
	v_fmac_f32_e32 v57, 0xbf167918, v55
	v_fmamk_f32 v55, v49, 0x3f737871, v47
	v_fmac_f32_e32 v17, 0x3f167918, v16
	v_fmac_f32_e32 v44, 0xbf167918, v16
	v_fmamk_f32 v16, v22, 0x3f737871, v2
	v_fmac_f32_e32 v2, 0xbf737871, v22
	v_fmamk_f32 v61, v21, 0xbf737871, v59
	v_fmac_f32_e32 v59, 0x3f737871, v21
	v_mul_lo_u16 v48, v39, 10
	v_fmac_f32_e32 v56, 0x3f737871, v23
	v_fmac_f32_e32 v47, 0xbf737871, v49
	v_add_f32_e32 v26, v54, v26
	v_fmac_f32_e32 v19, 0xbf167918, v22
	v_fmac_f32_e32 v55, 0x3f167918, v21
	v_add_f32_e32 v42, v42, v60
	v_fmac_f32_e32 v16, 0xbf167918, v23
	v_fmac_f32_e32 v2, 0x3f167918, v23
	;; [unrolled: 1-line block ×4, first 2 shown]
	v_mov_b32_e32 v60, 5
	v_sub_nc_u16 v48, v30, v48
	v_mul_lo_u16 v43, v62, 10
	v_fmac_f32_e32 v56, 0x3f167918, v22
	v_fmac_f32_e32 v47, 0xbf167918, v21
	;; [unrolled: 1-line block ×10, first 2 shown]
	v_add_f32_e32 v26, v26, v37
	v_add_f32_e32 v22, v25, v24
	v_fmac_f32_e32 v19, 0x3e9e377a, v58
	v_fmac_f32_e32 v55, 0x3e9e377a, v53
	;; [unrolled: 1-line block ×6, first 2 shown]
	v_lshlrev_b32_sdwa v54, v60, v48 dst_sel:DWORD dst_unused:UNUSED_PAD src0_sel:DWORD src1_sel:BYTE_0
	v_fmac_f32_e32 v56, 0x3e9e377a, v58
	v_fmac_f32_e32 v47, 0x3e9e377a, v53
	ds_write2_b32 v51, v20, v46 offset1:2
	ds_write2_b32 v51, v27, v29 offset0:4 offset1:6
	ds_write_b32 v51, v28 offset:32
	ds_write2_b32 v52, v26, v19 offset1:2
	ds_write2_b32 v52, v16, v2 offset0:4 offset1:6
	ds_write_b32 v52, v56 offset:32
	s_waitcnt lgkmcnt(0)
	s_barrier
	buffer_gl0_inv
	ds_read2_b32 v[20:21], v6 offset0:43 offset1:218
	ds_read2_b32 v[36:37], v4 offset0:73 offset1:248
	ds_read_b32 v2, v3
	ds_read_b32 v42, v13
	ds_read_b32 v23, v13 offset:2100
	ds_read_b32 v28, v7
	ds_read_b32 v29, v14
	ds_read_b32 v63, v13 offset:6300
	s_waitcnt lgkmcnt(0)
	s_barrier
	buffer_gl0_inv
	ds_write2_b32 v51, v18, v17 offset1:2
	ds_write2_b32 v51, v15, v57 offset0:4 offset1:6
	ds_write_b32 v51, v44 offset:32
	ds_write2_b32 v52, v22, v55 offset1:2
	ds_write2_b32 v52, v61, v59 offset0:4 offset1:6
	ds_write_b32 v52, v47 offset:32
	v_sub_nc_u16 v15, v31, v43
	s_waitcnt lgkmcnt(0)
	s_barrier
	buffer_gl0_inv
	s_clause 0x1
	global_load_dwordx4 v[16:19], v54, s[12:13] offset:64
	global_load_dwordx4 v[24:27], v54, s[12:13] offset:80
	v_lshlrev_b32_sdwa v22, v60, v15 dst_sel:DWORD dst_unused:UNUSED_PAD src0_sel:DWORD src1_sel:WORD_0
	s_clause 0x1
	global_load_dwordx4 v[50:53], v22, s[12:13] offset:64
	global_load_dwordx4 v[54:57], v22, s[12:13] offset:80
	ds_read_b32 v40, v14
	ds_read_b32 v41, v7
	v_mov_b32_e32 v22, 0xc8
	v_mov_b32_e32 v14, 2
	ds_read2_b32 v[6:7], v6 offset0:43 offset1:218
	ds_read2_b32 v[58:59], v4 offset0:73 offset1:248
	v_add_nc_u32_e32 v60, 0x7c0, v13
	v_mul_u32_u24_sdwa v22, v39, v22 dst_sel:DWORD dst_unused:UNUSED_PAD src0_sel:WORD_0 src1_sel:DWORD
	v_mul_u32_u24_e32 v39, 0xc8, v62
	v_lshlrev_b32_sdwa v43, v14, v48 dst_sel:DWORD dst_unused:UNUSED_PAD src0_sel:DWORD src1_sel:BYTE_0
	v_lshlrev_b32_sdwa v14, v14, v15 dst_sel:DWORD dst_unused:UNUSED_PAD src0_sel:DWORD src1_sel:WORD_0
	ds_read_b32 v15, v13
	ds_read_b32 v62, v13 offset:2100
	ds_read_b32 v4, v3
	ds_read_b32 v3, v13 offset:6300
	v_add_nc_u32_e32 v61, 0xfa0, v13
	v_add3_u32 v22, 0, v22, v43
	v_add3_u32 v14, 0, v39, v14
	s_waitcnt vmcnt(0) lgkmcnt(0)
	s_barrier
	buffer_gl0_inv
	v_mul_f32_e32 v46, v40, v17
	v_mul_f32_e32 v17, v29, v17
	;; [unrolled: 1-line block ×6, first 2 shown]
	v_fmac_f32_e32 v46, v29, v16
	v_fma_f32 v29, v40, v16, -v17
	v_mul_f32_e32 v16, v21, v25
	v_fmac_f32_e32 v47, v28, v18
	v_mul_f32_e32 v25, v6, v53
	v_mul_f32_e32 v28, v58, v55
	;; [unrolled: 1-line block ×4, first 2 shown]
	v_fma_f32 v41, v41, v18, -v19
	v_mul_f32_e32 v17, v37, v27
	v_mul_f32_e32 v19, v20, v53
	v_fmac_f32_e32 v48, v21, v24
	v_fmac_f32_e32 v49, v37, v26
	v_mul_f32_e32 v18, v23, v51
	v_fma_f32 v43, v7, v24, -v16
	v_mul_f32_e32 v16, v63, v57
	v_fmac_f32_e32 v25, v20, v52
	v_fmac_f32_e32 v28, v36, v54
	v_mul_f32_e32 v7, v36, v55
	v_fmac_f32_e32 v40, v23, v50
	v_fmac_f32_e32 v44, v63, v56
	v_fma_f32 v45, v59, v26, -v17
	v_fma_f32 v26, v6, v52, -v19
	v_add_f32_e32 v6, v47, v48
	v_add_f32_e32 v19, v46, v49
	v_fma_f32 v24, v62, v50, -v18
	v_fma_f32 v23, v3, v56, -v16
	v_add_f32_e32 v3, v42, v46
	v_add_f32_e32 v37, v25, v28
	v_fma_f32 v27, v58, v54, -v7
	v_add_f32_e32 v53, v40, v44
	v_sub_f32_e32 v7, v29, v45
	v_fma_f32 v6, -0.5, v6, v42
	v_sub_f32_e32 v16, v41, v43
	v_sub_f32_e32 v17, v46, v47
	;; [unrolled: 1-line block ×7, first 2 shown]
	v_fmac_f32_e32 v42, -0.5, v19
	v_add_f32_e32 v36, v2, v40
	v_sub_f32_e32 v50, v24, v23
	v_add_f32_e32 v56, v3, v47
	v_fma_f32 v3, -0.5, v37, v2
	v_sub_f32_e32 v51, v26, v27
	v_fmac_f32_e32 v2, -0.5, v53
	v_fmamk_f32 v37, v7, 0xbf737871, v6
	v_add_f32_e32 v17, v17, v18
	v_add_f32_e32 v18, v20, v21
	;; [unrolled: 1-line block ×3, first 2 shown]
	v_fmamk_f32 v52, v16, 0x3f737871, v42
	v_fmac_f32_e32 v42, 0xbf737871, v16
	v_fmac_f32_e32 v6, 0x3f737871, v7
	v_add_f32_e32 v19, v36, v25
	v_fmamk_f32 v53, v50, 0xbf737871, v3
	v_sub_f32_e32 v54, v25, v40
	v_sub_f32_e32 v55, v28, v44
	v_fmamk_f32 v39, v51, 0x3f737871, v2
	v_fmac_f32_e32 v2, 0xbf737871, v51
	v_add_f32_e32 v36, v56, v48
	v_fmac_f32_e32 v3, 0x3f737871, v50
	v_fmac_f32_e32 v37, 0xbf167918, v16
	;; [unrolled: 1-line block ×5, first 2 shown]
	v_add_f32_e32 v19, v19, v28
	v_fmac_f32_e32 v53, 0xbf167918, v51
	v_add_f32_e32 v21, v54, v55
	v_fmac_f32_e32 v39, 0xbf167918, v50
	v_fmac_f32_e32 v2, 0x3f167918, v50
	v_add_f32_e32 v36, v36, v49
	v_fmac_f32_e32 v3, 0x3f167918, v51
	v_fmac_f32_e32 v37, 0x3e9e377a, v17
	;; [unrolled: 1-line block ×5, first 2 shown]
	v_add_f32_e32 v7, v19, v44
	v_fmac_f32_e32 v53, 0x3e9e377a, v20
	v_fmac_f32_e32 v39, 0x3e9e377a, v21
	v_fmac_f32_e32 v2, 0x3e9e377a, v21
	v_fmac_f32_e32 v3, 0x3e9e377a, v20
	ds_write2_b32 v22, v36, v37 offset1:10
	ds_write2_b32 v22, v52, v42 offset0:20 offset1:30
	ds_write_b32 v22, v6 offset:160
	ds_write2_b32 v14, v7, v53 offset1:10
	ds_write2_b32 v14, v39, v2 offset0:20 offset1:30
	ds_write_b32 v14, v3 offset:160
	s_waitcnt lgkmcnt(0)
	s_barrier
	buffer_gl0_inv
	ds_read2_b32 v[6:7], v13 offset1:250
	ds_read2_b32 v[20:21], v60 offset0:4 offset1:254
	ds_read2_b32 v[18:19], v61 offset1:250
	ds_read_b32 v42, v13 offset:6000
	v_sub_nc_u32_e32 v13, 0, v1
	v_sub_nc_u32_e32 v16, 0, v0
                                        ; implicit-def: $vgpr17
	v_add_nc_u32_e32 v37, v12, v13
	v_add_nc_u32_e32 v36, v5, v16
                                        ; implicit-def: $vgpr13
	s_and_saveexec_b32 s1, s0
	s_cbranch_execz .LBB0_15
; %bb.14:
	v_add_nc_u32_e32 v2, 0x6a0, v36
	v_add_nc_u32_e32 v5, 0xe60, v36
	;; [unrolled: 1-line block ×3, first 2 shown]
	ds_read_b32 v39, v37
	ds_read2_b32 v[2:3], v2 offset0:1 offset1:251
	ds_read2_b32 v[16:17], v5 offset0:5 offset1:255
	;; [unrolled: 1-line block ×3, first 2 shown]
.LBB0_15:
	s_or_b32 exec_lo, exec_lo, s1
	v_add_f32_e32 v5, v41, v43
	v_add_f32_e32 v50, v15, v29
	v_sub_f32_e32 v46, v46, v49
	v_sub_f32_e32 v47, v47, v48
	v_add_f32_e32 v51, v29, v45
	v_fma_f32 v48, -0.5, v5, v15
	v_sub_f32_e32 v5, v29, v41
	v_sub_f32_e32 v49, v45, v43
	v_add_f32_e32 v50, v50, v41
	v_fmac_f32_e32 v15, -0.5, v51
	v_fmamk_f32 v52, v46, 0x3f737871, v48
	v_fmac_f32_e32 v48, 0xbf737871, v46
	v_add_f32_e32 v5, v5, v49
	v_add_f32_e32 v49, v50, v43
	v_sub_f32_e32 v29, v41, v29
	v_sub_f32_e32 v41, v43, v45
	v_add_f32_e32 v43, v4, v24
	v_fmac_f32_e32 v52, 0x3f167918, v47
	v_fmac_f32_e32 v48, 0xbf167918, v47
	v_add_f32_e32 v50, v26, v27
	v_fmamk_f32 v51, v47, 0xbf737871, v15
	v_fmac_f32_e32 v15, 0x3f737871, v47
	v_sub_f32_e32 v44, v40, v44
	v_add_f32_e32 v40, v43, v26
	v_add_f32_e32 v43, v24, v23
	v_fmac_f32_e32 v52, 0x3e9e377a, v5
	v_fmac_f32_e32 v48, 0x3e9e377a, v5
	v_fma_f32 v5, -0.5, v50, v4
	v_fmac_f32_e32 v51, 0x3f167918, v46
	v_add_f32_e32 v29, v29, v41
	v_fmac_f32_e32 v15, 0xbf167918, v46
	v_sub_f32_e32 v25, v25, v28
	v_fmac_f32_e32 v4, -0.5, v43
	v_fmamk_f32 v41, v44, 0x3f737871, v5
	v_fmac_f32_e32 v51, 0x3e9e377a, v29
	v_fmac_f32_e32 v15, 0x3e9e377a, v29
	v_sub_f32_e32 v29, v24, v26
	v_sub_f32_e32 v43, v23, v27
	v_add_f32_e32 v28, v40, v27
	v_fmamk_f32 v40, v25, 0xbf737871, v4
	v_sub_f32_e32 v24, v26, v24
	v_sub_f32_e32 v26, v27, v23
	v_fmac_f32_e32 v4, 0x3f737871, v25
	v_fmac_f32_e32 v5, 0xbf737871, v44
	;; [unrolled: 1-line block ×3, first 2 shown]
	v_add_f32_e32 v27, v29, v43
	v_fmac_f32_e32 v40, 0x3f167918, v44
	v_add_f32_e32 v24, v24, v26
	v_fmac_f32_e32 v4, 0xbf167918, v44
	;; [unrolled: 2-line block ×4, first 2 shown]
	v_fmac_f32_e32 v40, 0x3e9e377a, v24
	v_fmac_f32_e32 v4, 0x3e9e377a, v24
	;; [unrolled: 1-line block ×3, first 2 shown]
	s_waitcnt lgkmcnt(0)
	s_barrier
	buffer_gl0_inv
	ds_write2_b32 v22, v49, v52 offset1:10
	ds_write2_b32 v22, v51, v15 offset0:20 offset1:30
	ds_write_b32 v22, v48 offset:160
	ds_write2_b32 v14, v23, v41 offset1:10
	ds_write2_b32 v14, v40, v4 offset0:20 offset1:30
	ds_write_b32 v14, v5 offset:160
	v_add_nc_u32_e32 v22, 0x7c0, v36
	v_add_nc_u32_e32 v23, 0xfa0, v36
	s_waitcnt lgkmcnt(0)
	s_barrier
	buffer_gl0_inv
	ds_read2_b32 v[14:15], v36 offset1:250
	ds_read2_b32 v[28:29], v22 offset0:4 offset1:254
	ds_read2_b32 v[26:27], v23 offset1:250
	ds_read_b32 v43, v36 offset:6000
                                        ; implicit-def: $vgpr25
                                        ; implicit-def: $vgpr23
	s_and_saveexec_b32 s1, s0
	s_cbranch_execz .LBB0_17
; %bb.16:
	v_add_nc_u32_e32 v4, 0x6a0, v36
	v_add_nc_u32_e32 v22, 0xe60, v36
	;; [unrolled: 1-line block ×3, first 2 shown]
	ds_read_b32 v40, v37
	ds_read2_b32 v[4:5], v4 offset0:1 offset1:251
	ds_read2_b32 v[24:25], v22 offset0:5 offset1:255
	;; [unrolled: 1-line block ×3, first 2 shown]
.LBB0_17:
	s_or_b32 exec_lo, exec_lo, s1
	v_mul_lo_u16 v38, v38, 41
	v_mov_b32_e32 v44, 6
	v_lshrrev_b16 v41, 1, v31
	v_mov_b32_e32 v49, 0x147b
	v_lshrrev_b16 v70, 11, v38
	v_mul_u32_u24_sdwa v41, v41, v49 dst_sel:DWORD dst_unused:UNUSED_PAD src0_sel:WORD_0 src1_sel:DWORD
	v_mul_lo_u16 v38, v70, 50
	v_lshrrev_b32_e32 v41, 17, v41
	v_sub_nc_u16 v71, v30, v38
	v_mul_lo_u16 v41, v41, 50
	v_mul_u32_u24_sdwa v38, v71, v44 dst_sel:DWORD dst_unused:UNUSED_PAD src0_sel:BYTE_0 src1_sel:DWORD
	v_sub_nc_u16 v41, v31, v41
	v_lshlrev_b32_e32 v38, 3, v38
	v_mul_u32_u24_sdwa v44, v41, v44 dst_sel:DWORD dst_unused:UNUSED_PAD src0_sel:WORD_0 src1_sel:DWORD
	s_clause 0x2
	global_load_dwordx4 v[45:48], v38, s[12:13] offset:384
	global_load_dwordx4 v[50:53], v38, s[12:13] offset:400
	;; [unrolled: 1-line block ×3, first 2 shown]
	v_lshlrev_b32_e32 v49, 3, v44
	s_clause 0x2
	global_load_dwordx4 v[58:61], v49, s[12:13] offset:384
	global_load_dwordx4 v[62:65], v49, s[12:13] offset:400
	;; [unrolled: 1-line block ×3, first 2 shown]
	v_mov_b32_e32 v49, 2
	s_waitcnt vmcnt(0) lgkmcnt(0)
	s_barrier
	buffer_gl0_inv
	v_mul_f32_e32 v38, v15, v46
	v_mul_f32_e32 v46, v7, v46
	;; [unrolled: 1-line block ×4, first 2 shown]
	v_fmac_f32_e32 v38, v7, v45
	v_fma_f32 v45, v15, v45, -v46
	v_fmac_f32_e32 v44, v20, v47
	v_fma_f32 v46, v28, v47, -v48
	v_mov_b32_e32 v48, 0x578
	v_lshlrev_b32_sdwa v47, v49, v71 dst_sel:DWORD dst_unused:UNUSED_PAD src0_sel:DWORD src1_sel:BYTE_0
	v_sub_nc_u32_e32 v28, 0, v35
	v_and_b32_e32 v7, 0xff, v31
	v_mul_f32_e32 v31, v29, v51
	v_mul_u32_u24_sdwa v20, v70, v48 dst_sel:DWORD dst_unused:UNUSED_PAD src0_sel:WORD_0 src1_sel:DWORD
	v_mul_f32_e32 v35, v21, v51
	v_sub_nc_u32_e32 v15, 0, v34
	v_mul_f32_e32 v34, v26, v53
	v_fmac_f32_e32 v31, v21, v50
	v_add3_u32 v20, 0, v20, v47
	v_mul_f32_e32 v21, v18, v53
	v_fma_f32 v35, v29, v50, -v35
	v_mul_f32_e32 v47, v27, v55
	v_mul_f32_e32 v29, v19, v55
	;; [unrolled: 1-line block ×3, first 2 shown]
	v_fmac_f32_e32 v34, v18, v52
	v_fma_f32 v50, v26, v52, -v21
	v_mul_f32_e32 v18, v42, v57
	v_fmac_f32_e32 v47, v19, v54
	v_fma_f32 v52, v27, v54, -v29
	v_fmac_f32_e32 v51, v42, v56
	v_mul_f32_e32 v21, v24, v63
	v_mul_f32_e32 v27, v22, v67
	v_fma_f32 v42, v43, v56, -v18
	v_mul_f32_e32 v19, v4, v59
	v_mul_f32_e32 v18, v5, v61
	;; [unrolled: 1-line block ×8, first 2 shown]
	v_fmac_f32_e32 v21, v16, v62
	v_fmac_f32_e32 v27, v12, v66
	v_add_f32_e32 v12, v38, v51
	v_add_f32_e32 v16, v44, v47
	v_fmac_f32_e32 v19, v2, v58
	v_fmac_f32_e32 v18, v3, v60
	v_fma_f32 v4, v4, v58, -v43
	v_fma_f32 v3, v5, v60, -v53
	;; [unrolled: 1-line block ×3, first 2 shown]
	v_fmac_f32_e32 v26, v17, v64
	v_fma_f32 v5, v25, v64, -v55
	v_sub_f32_e32 v17, v45, v42
	v_add_f32_e32 v24, v31, v34
	v_sub_f32_e32 v25, v46, v52
	v_sub_f32_e32 v43, v50, v35
	v_add_f32_e32 v53, v16, v12
	v_sub_f32_e32 v54, v16, v12
	v_sub_f32_e32 v12, v12, v24
	;; [unrolled: 1-line block ×3, first 2 shown]
	v_add_f32_e32 v55, v43, v25
	v_sub_f32_e32 v58, v43, v25
	v_sub_f32_e32 v25, v25, v17
	v_add_f32_e32 v24, v24, v53
	v_sub_f32_e32 v43, v17, v43
	v_mul_f32_e32 v12, 0x3f4a47b2, v12
	v_mul_f32_e32 v53, 0x3f08b237, v58
	;; [unrolled: 1-line block ×3, first 2 shown]
	v_add_f32_e32 v59, v6, v24
	v_add_f32_e32 v17, v55, v17
	v_mul_f32_e32 v55, 0x3d64c772, v16
	v_fmamk_f32 v6, v16, 0x3d64c772, v12
	v_fma_f32 v16, 0xbf5ff5aa, v25, -v53
	v_fmamk_f32 v25, v43, 0xbeae86e6, v53
	v_fma_f32 v43, 0x3eae86e6, v43, -v58
	v_fmamk_f32 v24, v24, 0xbf955555, v59
	v_fma_f32 v53, 0x3f3bfb3b, v54, -v55
	v_fma_f32 v12, 0xbf3bfb3b, v54, -v12
	v_mul_f32_e32 v29, v23, v69
	v_mul_f32_e32 v57, v13, v69
	v_fmac_f32_e32 v25, 0xbee1c552, v17
	v_fmac_f32_e32 v16, 0xbee1c552, v17
	;; [unrolled: 1-line block ×3, first 2 shown]
	v_add_f32_e32 v17, v6, v24
	v_add_f32_e32 v12, v12, v24
	v_add_f32_e32 v24, v53, v24
	v_fma_f32 v6, v22, v66, -v56
	v_fmac_f32_e32 v29, v13, v68
	v_add_f32_e32 v13, v25, v17
	v_fma_f32 v22, v23, v68, -v57
	v_add_f32_e32 v53, v43, v12
	v_sub_f32_e32 v54, v24, v16
	v_add_f32_e32 v16, v16, v24
	v_sub_f32_e32 v12, v12, v43
	v_sub_f32_e32 v17, v17, v25
	ds_write2_b32 v20, v59, v13 offset1:50
	ds_write2_b32 v20, v53, v54 offset0:100 offset1:150
	ds_write2_b32 v20, v16, v12 offset0:200 offset1:250
	ds_write_b32 v20, v17 offset:1200
	s_and_saveexec_b32 s1, s0
	s_cbranch_execz .LBB0_19
; %bb.18:
	v_add_f32_e32 v12, v19, v29
	v_add_f32_e32 v13, v18, v27
	;; [unrolled: 1-line block ×3, first 2 shown]
	v_sub_f32_e32 v17, v5, v2
	v_sub_f32_e32 v23, v3, v6
	;; [unrolled: 1-line block ×3, first 2 shown]
	v_add_f32_e32 v24, v13, v12
	v_sub_f32_e32 v43, v12, v16
	v_sub_f32_e32 v53, v16, v13
	;; [unrolled: 1-line block ×4, first 2 shown]
	v_add_f32_e32 v16, v16, v24
	v_sub_f32_e32 v24, v25, v17
	v_add_f32_e32 v17, v17, v23
	v_mul_f32_e32 v43, 0x3f4a47b2, v43
	v_sub_f32_e32 v23, v23, v25
	v_mul_f32_e32 v54, 0x3f08b237, v54
	v_add_f32_e32 v39, v39, v16
	v_mul_f32_e32 v13, 0x3d64c772, v53
	v_mul_lo_u16 v56, v7, 41
	v_add_f32_e32 v17, v17, v25
	v_fmamk_f32 v25, v53, 0x3d64c772, v43
	v_mul_f32_e32 v53, 0xbf5ff5aa, v23
	v_fmamk_f32 v55, v24, 0xbeae86e6, v54
	v_fmamk_f32 v16, v16, 0xbf955555, v39
	v_fma_f32 v43, 0xbf3bfb3b, v12, -v43
	v_fma_f32 v12, 0x3f3bfb3b, v12, -v13
	v_lshrrev_b16 v13, 11, v56
	v_fma_f32 v24, 0x3eae86e6, v24, -v53
	v_fma_f32 v23, 0xbf5ff5aa, v23, -v54
	v_fmac_f32_e32 v55, 0xbee1c552, v17
	v_add_f32_e32 v25, v25, v16
	v_add_f32_e32 v43, v43, v16
	;; [unrolled: 1-line block ×3, first 2 shown]
	v_mul_u32_u24_sdwa v13, v13, v48 dst_sel:DWORD dst_unused:UNUSED_PAD src0_sel:WORD_0 src1_sel:DWORD
	v_lshlrev_b32_sdwa v16, v49, v41 dst_sel:DWORD dst_unused:UNUSED_PAD src0_sel:DWORD src1_sel:WORD_0
	v_fmac_f32_e32 v24, 0xbee1c552, v17
	v_fmac_f32_e32 v23, 0xbee1c552, v17
	v_add_f32_e32 v49, v55, v25
	v_add3_u32 v13, 0, v13, v16
	v_add_f32_e32 v16, v24, v43
	v_sub_f32_e32 v48, v12, v23
	v_sub_f32_e32 v17, v43, v24
	v_add_f32_e32 v12, v23, v12
	v_sub_f32_e32 v23, v25, v55
	ds_write2_b32 v13, v39, v49 offset1:50
	ds_write2_b32 v13, v16, v48 offset0:100 offset1:150
	ds_write2_b32 v13, v12, v17 offset0:200 offset1:250
	ds_write_b32 v13, v23 offset:1200
.LBB0_19:
	s_or_b32 exec_lo, exec_lo, s1
	v_add_f32_e32 v12, v45, v42
	v_add_f32_e32 v13, v46, v52
	;; [unrolled: 1-line block ×3, first 2 shown]
	v_sub_f32_e32 v23, v44, v47
	v_sub_f32_e32 v24, v34, v31
	v_sub_f32_e32 v16, v38, v51
	v_add_f32_e32 v25, v13, v12
	v_sub_f32_e32 v31, v13, v12
	v_sub_f32_e32 v12, v12, v17
	;; [unrolled: 1-line block ×3, first 2 shown]
	v_add_f32_e32 v34, v24, v23
	v_add_f32_e32 v17, v17, v25
	v_sub_f32_e32 v25, v24, v23
	v_sub_f32_e32 v24, v16, v24
	;; [unrolled: 1-line block ×3, first 2 shown]
	v_add_f32_e32 v42, v34, v16
	v_add_f32_e32 v43, v14, v17
	v_mul_f32_e32 v14, 0x3d64c772, v13
	v_mul_f32_e32 v12, 0x3f4a47b2, v12
	;; [unrolled: 1-line block ×4, first 2 shown]
	v_fmamk_f32 v44, v17, 0xbf955555, v43
	v_fma_f32 v14, 0x3f3bfb3b, v31, -v14
	v_fmamk_f32 v13, v13, 0x3d64c772, v12
	v_fmamk_f32 v45, v24, 0xbeae86e6, v16
	v_fma_f32 v23, 0xbf5ff5aa, v23, -v16
	v_add_nc_u32_e32 v16, v32, v28
	v_add_nc_u32_e32 v17, v33, v15
	v_fma_f32 v31, 0xbf3bfb3b, v31, -v12
	v_add_nc_u32_e32 v12, 0xd00, v36
	v_add_f32_e32 v46, v14, v44
	v_add_nc_u32_e32 v14, 0x1200, v36
	v_fma_f32 v24, 0x3eae86e6, v24, -v25
	v_add_f32_e32 v25, v13, v44
	s_waitcnt lgkmcnt(0)
	s_barrier
	buffer_gl0_inv
	ds_read_b32 v35, v16
	ds_read_b32 v34, v17
	ds_read2_b32 v[12:13], v12 offset0:43 offset1:218
	ds_read2_b32 v[14:15], v14 offset0:73 offset1:248
	ds_read_b32 v38, v36 offset:2100
	ds_read_b32 v39, v36 offset:6300
	ds_read_b32 v32, v36
	ds_read_b32 v33, v37
	v_fmac_f32_e32 v45, 0xbee1c552, v42
	v_add_f32_e32 v28, v31, v44
	v_fmac_f32_e32 v24, 0xbee1c552, v42
	v_fmac_f32_e32 v23, 0xbee1c552, v42
	s_waitcnt lgkmcnt(0)
	v_sub_f32_e32 v31, v25, v45
	v_add_f32_e32 v25, v45, v25
	v_sub_f32_e32 v42, v28, v24
	v_add_f32_e32 v44, v23, v46
	;; [unrolled: 2-line block ×3, first 2 shown]
	s_barrier
	buffer_gl0_inv
	ds_write2_b32 v20, v43, v31 offset1:50
	ds_write2_b32 v20, v42, v44 offset0:100 offset1:150
	ds_write2_b32 v20, v23, v24 offset0:200 offset1:250
	ds_write_b32 v20, v25 offset:1200
	s_and_saveexec_b32 s1, s0
	s_cbranch_execz .LBB0_21
; %bb.20:
	v_add_f32_e32 v4, v4, v22
	v_add_f32_e32 v3, v3, v6
	v_sub_f32_e32 v6, v19, v29
	v_add_f32_e32 v2, v2, v5
	v_sub_f32_e32 v5, v18, v27
	v_sub_f32_e32 v18, v26, v21
	v_add_f32_e32 v19, v3, v4
	v_sub_f32_e32 v20, v3, v4
	v_sub_f32_e32 v4, v4, v2
	;; [unrolled: 1-line block ×3, first 2 shown]
	v_add_f32_e32 v21, v18, v5
	v_add_f32_e32 v2, v2, v19
	v_sub_f32_e32 v19, v18, v5
	v_sub_f32_e32 v18, v6, v18
	v_sub_f32_e32 v5, v5, v6
	v_add_f32_e32 v6, v21, v6
	v_add_f32_e32 v21, v40, v2
	v_mul_f32_e32 v4, 0x3f4a47b2, v4
	v_mul_f32_e32 v22, 0x3d64c772, v3
	;; [unrolled: 1-line block ×4, first 2 shown]
	v_fmamk_f32 v2, v2, 0xbf955555, v21
	v_fmamk_f32 v3, v3, 0x3d64c772, v4
	v_fma_f32 v22, 0x3f3bfb3b, v20, -v22
	v_fma_f32 v4, 0xbf3bfb3b, v20, -v4
	v_mul_lo_u16 v7, v7, 41
	v_fmamk_f32 v20, v18, 0xbeae86e6, v19
	v_fma_f32 v5, 0xbf5ff5aa, v5, -v19
	v_fma_f32 v18, 0x3eae86e6, v18, -v23
	v_add_f32_e32 v3, v3, v2
	v_add_f32_e32 v19, v22, v2
	;; [unrolled: 1-line block ×3, first 2 shown]
	v_lshrrev_b16 v4, 11, v7
	v_mov_b32_e32 v7, 0x578
	v_mov_b32_e32 v22, 2
	v_fmac_f32_e32 v20, 0xbee1c552, v6
	v_fmac_f32_e32 v5, 0xbee1c552, v6
	;; [unrolled: 1-line block ×3, first 2 shown]
	v_mul_u32_u24_sdwa v4, v4, v7 dst_sel:DWORD dst_unused:UNUSED_PAD src0_sel:WORD_0 src1_sel:DWORD
	v_lshlrev_b32_sdwa v6, v22, v41 dst_sel:DWORD dst_unused:UNUSED_PAD src0_sel:DWORD src1_sel:WORD_0
	v_sub_f32_e32 v7, v3, v20
	v_add_f32_e32 v23, v5, v19
	v_sub_f32_e32 v22, v2, v18
	v_sub_f32_e32 v5, v19, v5
	v_add3_u32 v4, 0, v4, v6
	v_add_f32_e32 v2, v18, v2
	v_add_f32_e32 v3, v20, v3
	ds_write2_b32 v4, v21, v7 offset1:50
	ds_write2_b32 v4, v22, v23 offset0:100 offset1:150
	ds_write2_b32 v4, v5, v2 offset0:200 offset1:250
	ds_write_b32 v4, v3 offset:1200
.LBB0_21:
	s_or_b32 exec_lo, exec_lo, s1
	s_waitcnt lgkmcnt(0)
	s_barrier
	buffer_gl0_inv
	s_and_saveexec_b32 s0, vcc_lo
	s_cbranch_execz .LBB0_23
; %bb.22:
	v_mov_b32_e32 v2, 0
	v_add_nc_u32_e32 v21, 0xaf, v30
	v_mul_hi_u32 v20, 0x5d9f7391, v30
	v_mul_lo_u32 v18, s5, v10
	v_mul_lo_u32 v19, s4, v11
	v_lshlrev_b64 v[3:4], 3, v[1:2]
	v_mov_b32_e32 v1, v2
	v_mad_u64_u32 v[10:11], null, s4, v10, 0
	v_lshlrev_b64 v[8:9], 3, v[8:9]
	v_add_nc_u32_e32 v22, 0xd00, v36
	v_add_co_u32 v5, vcc_lo, s12, v3
	v_add_co_ci_u32_e32 v6, vcc_lo, s13, v4, vcc_lo
	v_lshlrev_b64 v[0:1], 3, v[0:1]
	v_add_co_u32 v2, vcc_lo, 0x800, v5
	v_add_co_ci_u32_e32 v3, vcc_lo, 0, v6, vcc_lo
	v_add_co_u32 v4, vcc_lo, 0xae0, v5
	v_add_co_ci_u32_e32 v5, vcc_lo, 0, v6, vcc_lo
	v_add3_u32 v11, v11, v19, v18
	s_clause 0x1
	global_load_dwordx4 v[40:43], v[2:3], off offset:736
	global_load_dwordx4 v[44:47], v[4:5], off offset:16
	v_add_co_u32 v2, vcc_lo, s12, v0
	v_add_co_ci_u32_e32 v3, vcc_lo, s13, v1, vcc_lo
	v_lshlrev_b64 v[10:11], 3, v[10:11]
	v_add_co_u32 v0, vcc_lo, 0x800, v2
	v_add_co_ci_u32_e32 v1, vcc_lo, 0, v3, vcc_lo
	v_add_co_u32 v2, vcc_lo, 0xae0, v2
	v_add_co_ci_u32_e32 v3, vcc_lo, 0, v3, vcc_lo
	s_clause 0x1
	global_load_dwordx4 v[4:7], v[0:1], off offset:736
	global_load_dwordx4 v[0:3], v[2:3], off offset:16
	ds_read_b32 v58, v37
	ds_read_b32 v59, v16
	;; [unrolled: 1-line block ×3, first 2 shown]
	v_mul_hi_u32 v16, 0x5d9f7391, v21
	v_lshrrev_b32_e32 v17, 7, v20
	v_add_nc_u32_e32 v23, 0x1200, v36
	ds_read_b32 v61, v36 offset:6300
	ds_read_b32 v62, v36 offset:2100
	ds_read_b32 v63, v36
	ds_read2_b32 v[36:37], v22 offset0:43 offset1:218
	ds_read2_b32 v[48:49], v23 offset0:73 offset1:248
	v_mul_u32_u24_e32 v17, 0x15e, v17
	v_lshrrev_b32_e32 v20, 7, v16
	v_sub_nc_u32_e32 v24, v30, v17
	v_mul_u32_u24_e32 v16, 0x15e, v20
	v_add_co_u32 v17, vcc_lo, s10, v10
	v_add_co_ci_u32_e32 v18, vcc_lo, s11, v11, vcc_lo
	v_sub_nc_u32_e32 v21, v21, v16
	v_add_nc_u32_e32 v53, 0x2bc, v24
	v_add_nc_u32_e32 v55, 0x41a, v24
	;; [unrolled: 1-line block ×4, first 2 shown]
	v_mad_u32_u24 v57, 0x6d6, v20, v21
	v_mad_u64_u32 v[10:11], null, s2, v24, 0
	v_add_co_u32 v64, vcc_lo, v17, v8
	v_mad_u64_u32 v[16:17], null, s2, v53, 0
	v_add_co_ci_u32_e32 v65, vcc_lo, v18, v9, vcc_lo
	v_mad_u64_u32 v[18:19], null, s2, v55, 0
	v_mad_u64_u32 v[8:9], null, s2, v31, 0
	;; [unrolled: 1-line block ×4, first 2 shown]
	v_add_nc_u32_e32 v66, 0x15e, v57
	v_add_nc_u32_e32 v67, 0x2bc, v57
	v_add_nc_u32_e32 v68, 0x41a, v57
	v_add_nc_u32_e32 v69, 0x578, v57
	v_mad_u64_u32 v[24:25], null, s3, v24, v[11:12]
	v_mov_b32_e32 v11, v17
	v_mad_u64_u32 v[25:26], null, s2, v66, 0
	v_mov_b32_e32 v17, v19
	;; [unrolled: 2-line block ×3, first 2 shown]
	v_mad_u64_u32 v[29:30], null, s2, v68, 0
	v_mad_u64_u32 v[50:51], null, s3, v31, v[9:10]
	v_mov_b32_e32 v9, v23
	v_mad_u64_u32 v[51:52], null, s2, v69, 0
	v_mad_u64_u32 v[53:54], null, s3, v53, v[11:12]
	v_mad_u64_u32 v[54:55], null, s3, v55, v[17:18]
	v_mad_u64_u32 v[55:56], null, s3, v56, v[19:20]
	v_mov_b32_e32 v11, v24
	v_mad_u64_u32 v[23:24], null, s3, v57, v[9:10]
	v_mov_b32_e32 v24, v26
	v_mov_b32_e32 v26, v28
	;; [unrolled: 1-line block ×6, first 2 shown]
	v_mad_u64_u32 v[52:53], null, s3, v66, v[24:25]
	v_lshlrev_b64 v[10:11], 3, v[10:11]
	v_mov_b32_e32 v19, v54
	v_mad_u64_u32 v[53:54], null, s3, v67, v[26:27]
	v_mov_b32_e32 v21, v55
	v_mad_u64_u32 v[54:55], null, s3, v68, v[28:29]
	v_mad_u64_u32 v[55:56], null, s3, v69, v[30:31]
	v_lshlrev_b64 v[56:57], 3, v[8:9]
	v_lshlrev_b64 v[16:17], 3, v[16:17]
	v_add_co_u32 v8, vcc_lo, v64, v10
	v_add_co_ci_u32_e32 v9, vcc_lo, v65, v11, vcc_lo
	v_lshlrev_b64 v[18:19], 3, v[18:19]
	v_add_co_u32 v10, vcc_lo, v64, v56
	v_add_co_ci_u32_e32 v11, vcc_lo, v65, v57, vcc_lo
	v_lshlrev_b64 v[20:21], 3, v[20:21]
	v_add_co_u32 v16, vcc_lo, v64, v16
	v_mov_b32_e32 v26, v52
	v_add_co_ci_u32_e32 v17, vcc_lo, v65, v17, vcc_lo
	v_lshlrev_b64 v[22:23], 3, v[22:23]
	v_add_co_u32 v18, vcc_lo, v64, v18
	v_mov_b32_e32 v28, v53
	v_add_co_ci_u32_e32 v19, vcc_lo, v65, v19, vcc_lo
	v_add_co_u32 v20, vcc_lo, v64, v20
	v_lshlrev_b64 v[24:25], 3, v[25:26]
	v_mov_b32_e32 v30, v54
	v_add_co_ci_u32_e32 v21, vcc_lo, v65, v21, vcc_lo
	v_lshlrev_b64 v[53:54], 3, v[27:28]
	v_add_co_u32 v22, vcc_lo, v64, v22
	v_mov_b32_e32 v52, v55
	v_add_co_ci_u32_e32 v23, vcc_lo, v65, v23, vcc_lo
	v_lshlrev_b64 v[30:31], 3, v[29:30]
	v_add_co_u32 v26, vcc_lo, v64, v24
	v_add_co_ci_u32_e32 v27, vcc_lo, v65, v25, vcc_lo
	v_lshlrev_b64 v[50:51], 3, v[51:52]
	v_add_co_u32 v28, vcc_lo, v64, v53
	v_add_co_ci_u32_e32 v29, vcc_lo, v65, v54, vcc_lo
	v_add_co_u32 v30, vcc_lo, v64, v30
	v_add_co_ci_u32_e32 v31, vcc_lo, v65, v31, vcc_lo
	;; [unrolled: 2-line block ×3, first 2 shown]
	s_waitcnt vmcnt(3)
	v_mul_f32_e32 v50, v38, v41
	v_mul_f32_e32 v51, v12, v43
	s_waitcnt vmcnt(2)
	v_mul_f32_e32 v52, v39, v47
	v_mul_f32_e32 v53, v14, v45
	s_waitcnt lgkmcnt(4)
	v_mul_f32_e32 v47, v61, v47
	s_waitcnt lgkmcnt(1)
	v_mul_f32_e32 v43, v36, v43
	s_waitcnt lgkmcnt(0)
	v_mul_f32_e32 v45, v48, v45
	v_mul_f32_e32 v41, v62, v41
	v_fma_f32 v50, v62, v40, -v50
	v_fma_f32 v36, v36, v42, -v51
	;; [unrolled: 1-line block ×4, first 2 shown]
	v_fmac_f32_e32 v47, v39, v46
	v_fmac_f32_e32 v43, v12, v42
	;; [unrolled: 1-line block ×4, first 2 shown]
	s_waitcnt vmcnt(1)
	v_mul_f32_e32 v12, v35, v5
	v_mul_f32_e32 v14, v34, v7
	s_waitcnt vmcnt(0)
	v_mul_f32_e32 v39, v13, v1
	v_mul_f32_e32 v42, v60, v7
	;; [unrolled: 1-line block ×6, first 2 shown]
	v_sub_f32_e32 v1, v50, v36
	v_sub_f32_e32 v56, v50, v51
	v_sub_f32_e32 v61, v36, v50
	v_add_f32_e32 v64, v50, v51
	v_add_f32_e32 v50, v50, v58
	v_fma_f32 v12, v59, v4, -v12
	v_fma_f32 v59, v60, v6, -v14
	;; [unrolled: 1-line block ×3, first 2 shown]
	v_fmac_f32_e32 v42, v34, v6
	v_fmac_f32_e32 v44, v13, v0
	v_sub_f32_e32 v46, v41, v47
	v_sub_f32_e32 v53, v41, v43
	;; [unrolled: 1-line block ×3, first 2 shown]
	v_add_f32_e32 v55, v43, v45
	v_sub_f32_e32 v62, v48, v51
	v_sub_f32_e32 v65, v43, v41
	;; [unrolled: 1-line block ×3, first 2 shown]
	v_add_f32_e32 v67, v41, v47
	v_add_f32_e32 v41, v33, v41
	v_fma_f32 v38, v49, v2, -v38
	v_fmac_f32_e32 v5, v35, v4
	v_fmac_f32_e32 v40, v15, v2
	v_add_f32_e32 v13, v36, v50
	v_add_f32_e32 v34, v59, v39
	;; [unrolled: 1-line block ×3, first 2 shown]
	v_sub_f32_e32 v3, v51, v48
	v_add_f32_e32 v7, v36, v48
	v_add_f32_e32 v53, v53, v54
	v_fma_f32 v0, -0.5, v55, v33
	v_add_f32_e32 v54, v61, v62
	v_add_f32_e32 v55, v65, v66
	v_fma_f32 v2, -0.5, v67, v33
	v_add_f32_e32 v14, v41, v43
	v_sub_f32_e32 v15, v12, v59
	v_sub_f32_e32 v33, v38, v39
	v_add_f32_e32 v62, v12, v38
	v_add_f32_e32 v66, v5, v40
	;; [unrolled: 1-line block ×4, first 2 shown]
	v_sub_f32_e32 v57, v36, v48
	v_sub_f32_e32 v41, v5, v40
	;; [unrolled: 1-line block ×6, first 2 shown]
	v_add_f32_e32 v48, v48, v13
	v_fma_f32 v13, -0.5, v34, v63
	v_fma_f32 v12, -0.5, v37, v32
	v_sub_f32_e32 v52, v43, v45
	v_add_f32_e32 v49, v1, v3
	v_fma_f32 v1, -0.5, v7, v58
	v_fma_f32 v3, -0.5, v64, v58
	v_sub_f32_e32 v43, v42, v44
	v_sub_f32_e32 v58, v59, v39
	v_add_f32_e32 v45, v14, v45
	v_add_f32_e32 v69, v15, v33
	v_fma_f32 v15, -0.5, v62, v63
	v_fma_f32 v14, -0.5, v66, v32
	v_sub_f32_e32 v64, v42, v5
	v_add_f32_e32 v59, v59, v67
	v_add_f32_e32 v42, v68, v42
	v_add_f32_e32 v70, v35, v36
	v_fmamk_f32 v35, v41, 0xbf737871, v13
	v_fmamk_f32 v34, v50, 0x3f737871, v12
	v_fmac_f32_e32 v13, 0x3f737871, v41
	v_fmac_f32_e32 v12, 0xbf737871, v50
	v_sub_f32_e32 v61, v39, v38
	v_sub_f32_e32 v65, v44, v40
	v_fmamk_f32 v37, v43, 0xbf737871, v15
	v_fmamk_f32 v36, v58, 0x3f737871, v14
	v_fmac_f32_e32 v15, 0x3f737871, v43
	v_fmac_f32_e32 v14, 0xbf737871, v58
	v_fmamk_f32 v5, v46, 0xbf737871, v1
	v_fmamk_f32 v4, v56, 0x3f737871, v0
	;; [unrolled: 1-line block ×4, first 2 shown]
	v_fmac_f32_e32 v3, 0xbf737871, v52
	v_fmac_f32_e32 v2, 0x3f737871, v57
	;; [unrolled: 1-line block ×4, first 2 shown]
	v_add_f32_e32 v39, v39, v59
	v_add_f32_e32 v42, v42, v44
	v_fmac_f32_e32 v13, 0x3f167918, v43
	v_fmac_f32_e32 v12, 0xbf167918, v58
	v_add_f32_e32 v60, v60, v61
	v_add_f32_e32 v61, v64, v65
	v_fmac_f32_e32 v37, 0x3f167918, v41
	v_fmac_f32_e32 v36, 0xbf167918, v50
	v_fmac_f32_e32 v15, 0xbf167918, v41
	v_fmac_f32_e32 v14, 0x3f167918, v50
	v_fmac_f32_e32 v35, 0xbf167918, v43
	v_fmac_f32_e32 v34, 0x3f167918, v58
	v_fmac_f32_e32 v5, 0xbf167918, v52
	v_fmac_f32_e32 v4, 0x3f167918, v57
	v_fmac_f32_e32 v7, 0xbf167918, v46
	v_fmac_f32_e32 v6, 0x3f167918, v56
	v_fmac_f32_e32 v3, 0x3f167918, v46
	v_fmac_f32_e32 v2, 0xbf167918, v56
	v_fmac_f32_e32 v1, 0x3f167918, v52
	v_fmac_f32_e32 v0, 0xbf167918, v57
	v_add_f32_e32 v39, v38, v39
	v_add_f32_e32 v38, v40, v42
	v_fmac_f32_e32 v13, 0x3e9e377a, v69
	v_fmac_f32_e32 v12, 0x3e9e377a, v70
	;; [unrolled: 1-line block ×8, first 2 shown]
	v_add_f32_e32 v33, v51, v48
	v_add_f32_e32 v32, v47, v45
	v_fmac_f32_e32 v5, 0x3e9e377a, v49
	v_fmac_f32_e32 v4, 0x3e9e377a, v53
	;; [unrolled: 1-line block ×8, first 2 shown]
	global_store_dwordx2 v[8:9], v[38:39], off
	global_store_dwordx2 v[10:11], v[12:13], off
	;; [unrolled: 1-line block ×10, first 2 shown]
.LBB0_23:
	s_endpgm
	.section	.rodata,"a",@progbits
	.p2align	6, 0x0
	.amdhsa_kernel fft_rtc_back_len1750_factors_2_5_5_7_5_wgs_175_tpt_175_halfLds_sp_op_CI_CI_sbrr_dirReg
		.amdhsa_group_segment_fixed_size 0
		.amdhsa_private_segment_fixed_size 0
		.amdhsa_kernarg_size 104
		.amdhsa_user_sgpr_count 6
		.amdhsa_user_sgpr_private_segment_buffer 1
		.amdhsa_user_sgpr_dispatch_ptr 0
		.amdhsa_user_sgpr_queue_ptr 0
		.amdhsa_user_sgpr_kernarg_segment_ptr 1
		.amdhsa_user_sgpr_dispatch_id 0
		.amdhsa_user_sgpr_flat_scratch_init 0
		.amdhsa_user_sgpr_private_segment_size 0
		.amdhsa_wavefront_size32 1
		.amdhsa_uses_dynamic_stack 0
		.amdhsa_system_sgpr_private_segment_wavefront_offset 0
		.amdhsa_system_sgpr_workgroup_id_x 1
		.amdhsa_system_sgpr_workgroup_id_y 0
		.amdhsa_system_sgpr_workgroup_id_z 0
		.amdhsa_system_sgpr_workgroup_info 0
		.amdhsa_system_vgpr_workitem_id 0
		.amdhsa_next_free_vgpr 72
		.amdhsa_next_free_sgpr 31
		.amdhsa_reserve_vcc 1
		.amdhsa_reserve_flat_scratch 0
		.amdhsa_float_round_mode_32 0
		.amdhsa_float_round_mode_16_64 0
		.amdhsa_float_denorm_mode_32 3
		.amdhsa_float_denorm_mode_16_64 3
		.amdhsa_dx10_clamp 1
		.amdhsa_ieee_mode 1
		.amdhsa_fp16_overflow 0
		.amdhsa_workgroup_processor_mode 1
		.amdhsa_memory_ordered 1
		.amdhsa_forward_progress 0
		.amdhsa_shared_vgpr_count 0
		.amdhsa_exception_fp_ieee_invalid_op 0
		.amdhsa_exception_fp_denorm_src 0
		.amdhsa_exception_fp_ieee_div_zero 0
		.amdhsa_exception_fp_ieee_overflow 0
		.amdhsa_exception_fp_ieee_underflow 0
		.amdhsa_exception_fp_ieee_inexact 0
		.amdhsa_exception_int_div_zero 0
	.end_amdhsa_kernel
	.text
.Lfunc_end0:
	.size	fft_rtc_back_len1750_factors_2_5_5_7_5_wgs_175_tpt_175_halfLds_sp_op_CI_CI_sbrr_dirReg, .Lfunc_end0-fft_rtc_back_len1750_factors_2_5_5_7_5_wgs_175_tpt_175_halfLds_sp_op_CI_CI_sbrr_dirReg
                                        ; -- End function
	.section	.AMDGPU.csdata,"",@progbits
; Kernel info:
; codeLenInByte = 8740
; NumSgprs: 33
; NumVgprs: 72
; ScratchSize: 0
; MemoryBound: 0
; FloatMode: 240
; IeeeMode: 1
; LDSByteSize: 0 bytes/workgroup (compile time only)
; SGPRBlocks: 4
; VGPRBlocks: 8
; NumSGPRsForWavesPerEU: 33
; NumVGPRsForWavesPerEU: 72
; Occupancy: 12
; WaveLimiterHint : 1
; COMPUTE_PGM_RSRC2:SCRATCH_EN: 0
; COMPUTE_PGM_RSRC2:USER_SGPR: 6
; COMPUTE_PGM_RSRC2:TRAP_HANDLER: 0
; COMPUTE_PGM_RSRC2:TGID_X_EN: 1
; COMPUTE_PGM_RSRC2:TGID_Y_EN: 0
; COMPUTE_PGM_RSRC2:TGID_Z_EN: 0
; COMPUTE_PGM_RSRC2:TIDIG_COMP_CNT: 0
	.text
	.p2alignl 6, 3214868480
	.fill 48, 4, 3214868480
	.type	__hip_cuid_f65d1809cfbdac65,@object ; @__hip_cuid_f65d1809cfbdac65
	.section	.bss,"aw",@nobits
	.globl	__hip_cuid_f65d1809cfbdac65
__hip_cuid_f65d1809cfbdac65:
	.byte	0                               ; 0x0
	.size	__hip_cuid_f65d1809cfbdac65, 1

	.ident	"AMD clang version 19.0.0git (https://github.com/RadeonOpenCompute/llvm-project roc-6.4.0 25133 c7fe45cf4b819c5991fe208aaa96edf142730f1d)"
	.section	".note.GNU-stack","",@progbits
	.addrsig
	.addrsig_sym __hip_cuid_f65d1809cfbdac65
	.amdgpu_metadata
---
amdhsa.kernels:
  - .args:
      - .actual_access:  read_only
        .address_space:  global
        .offset:         0
        .size:           8
        .value_kind:     global_buffer
      - .offset:         8
        .size:           8
        .value_kind:     by_value
      - .actual_access:  read_only
        .address_space:  global
        .offset:         16
        .size:           8
        .value_kind:     global_buffer
      - .actual_access:  read_only
        .address_space:  global
        .offset:         24
        .size:           8
        .value_kind:     global_buffer
      - .actual_access:  read_only
        .address_space:  global
        .offset:         32
        .size:           8
        .value_kind:     global_buffer
      - .offset:         40
        .size:           8
        .value_kind:     by_value
      - .actual_access:  read_only
        .address_space:  global
        .offset:         48
        .size:           8
        .value_kind:     global_buffer
      - .actual_access:  read_only
        .address_space:  global
        .offset:         56
        .size:           8
        .value_kind:     global_buffer
      - .offset:         64
        .size:           4
        .value_kind:     by_value
      - .actual_access:  read_only
        .address_space:  global
        .offset:         72
        .size:           8
        .value_kind:     global_buffer
      - .actual_access:  read_only
        .address_space:  global
        .offset:         80
        .size:           8
        .value_kind:     global_buffer
      - .actual_access:  read_only
        .address_space:  global
        .offset:         88
        .size:           8
        .value_kind:     global_buffer
      - .actual_access:  write_only
        .address_space:  global
        .offset:         96
        .size:           8
        .value_kind:     global_buffer
    .group_segment_fixed_size: 0
    .kernarg_segment_align: 8
    .kernarg_segment_size: 104
    .language:       OpenCL C
    .language_version:
      - 2
      - 0
    .max_flat_workgroup_size: 175
    .name:           fft_rtc_back_len1750_factors_2_5_5_7_5_wgs_175_tpt_175_halfLds_sp_op_CI_CI_sbrr_dirReg
    .private_segment_fixed_size: 0
    .sgpr_count:     33
    .sgpr_spill_count: 0
    .symbol:         fft_rtc_back_len1750_factors_2_5_5_7_5_wgs_175_tpt_175_halfLds_sp_op_CI_CI_sbrr_dirReg.kd
    .uniform_work_group_size: 1
    .uses_dynamic_stack: false
    .vgpr_count:     72
    .vgpr_spill_count: 0
    .wavefront_size: 32
    .workgroup_processor_mode: 1
amdhsa.target:   amdgcn-amd-amdhsa--gfx1030
amdhsa.version:
  - 1
  - 2
...

	.end_amdgpu_metadata
